;; amdgpu-corpus repo=ROCm/rocFFT kind=compiled arch=gfx906 opt=O3
	.text
	.amdgcn_target "amdgcn-amd-amdhsa--gfx906"
	.amdhsa_code_object_version 6
	.protected	fft_rtc_back_len200_factors_2_2_5_10_wgs_240_tpt_20_dim3_sp_ip_CI_sbcc_twdbase8_3step_dirReg ; -- Begin function fft_rtc_back_len200_factors_2_2_5_10_wgs_240_tpt_20_dim3_sp_ip_CI_sbcc_twdbase8_3step_dirReg
	.globl	fft_rtc_back_len200_factors_2_2_5_10_wgs_240_tpt_20_dim3_sp_ip_CI_sbcc_twdbase8_3step_dirReg
	.p2align	8
	.type	fft_rtc_back_len200_factors_2_2_5_10_wgs_240_tpt_20_dim3_sp_ip_CI_sbcc_twdbase8_3step_dirReg,@function
fft_rtc_back_len200_factors_2_2_5_10_wgs_240_tpt_20_dim3_sp_ip_CI_sbcc_twdbase8_3step_dirReg: ; @fft_rtc_back_len200_factors_2_2_5_10_wgs_240_tpt_20_dim3_sp_ip_CI_sbcc_twdbase8_3step_dirReg
; %bb.0:
	s_load_dwordx4 s[0:3], s[4:5], 0x10
	s_mov_b32 s7, 0
	s_mov_b64 s[20:21], 0
	s_waitcnt lgkmcnt(0)
	s_load_dwordx2 s[14:15], s[0:1], 0x8
	s_waitcnt lgkmcnt(0)
	s_add_u32 s8, s14, -1
	s_addc_u32 s9, s15, -1
	s_add_u32 s10, 0, 0x55540000
	s_addc_u32 s11, 0, 0x55
	s_mul_hi_u32 s13, s10, -12
	s_add_i32 s11, s11, 0x15555500
	s_sub_i32 s13, s13, s10
	s_mul_i32 s18, s11, -12
	s_mul_i32 s12, s10, -12
	s_add_i32 s13, s13, s18
	s_mul_hi_u32 s16, s11, s12
	s_mul_i32 s17, s11, s12
	s_mul_i32 s19, s10, s13
	s_mul_hi_u32 s12, s10, s12
	s_mul_hi_u32 s18, s10, s13
	s_add_u32 s12, s12, s19
	s_addc_u32 s18, 0, s18
	s_add_u32 s12, s12, s17
	s_mul_hi_u32 s19, s11, s13
	s_addc_u32 s12, s18, s16
	s_addc_u32 s16, s19, 0
	s_mul_i32 s13, s11, s13
	s_add_u32 s12, s12, s13
	v_mov_b32_e32 v1, s12
	s_addc_u32 s13, 0, s16
	v_add_co_u32_e32 v1, vcc, s10, v1
	s_cmp_lg_u64 vcc, 0
	s_addc_u32 s10, s11, s13
	v_readfirstlane_b32 s13, v1
	s_mul_i32 s12, s8, s10
	s_mul_hi_u32 s16, s8, s13
	s_mul_hi_u32 s11, s8, s10
	s_add_u32 s12, s16, s12
	s_addc_u32 s11, 0, s11
	s_mul_hi_u32 s17, s9, s13
	s_mul_i32 s13, s9, s13
	s_add_u32 s12, s12, s13
	s_mul_hi_u32 s16, s9, s10
	s_addc_u32 s11, s11, s17
	s_addc_u32 s12, s16, 0
	s_mul_i32 s10, s9, s10
	s_add_u32 s10, s11, s10
	s_addc_u32 s11, 0, s12
	s_add_u32 s12, s10, 1
	s_addc_u32 s13, s11, 0
	s_add_u32 s16, s10, 2
	s_mul_i32 s18, s11, 12
	s_mul_hi_u32 s19, s10, 12
	s_addc_u32 s17, s11, 0
	s_add_i32 s19, s19, s18
	s_mul_i32 s18, s10, 12
	v_mov_b32_e32 v1, s18
	v_sub_co_u32_e32 v1, vcc, s8, v1
	s_cmp_lg_u64 vcc, 0
	s_subb_u32 s8, s9, s19
	v_subrev_co_u32_e32 v2, vcc, 12, v1
	s_cmp_lg_u64 vcc, 0
	s_subb_u32 s9, s8, 0
	v_readfirstlane_b32 s18, v2
	s_cmp_gt_u32 s18, 11
	s_cselect_b32 s18, -1, 0
	s_cmp_eq_u32 s9, 0
	s_cselect_b32 s9, s18, -1
	s_cmp_lg_u32 s9, 0
	s_cselect_b32 s9, s16, s12
	s_cselect_b32 s12, s17, s13
	v_readfirstlane_b32 s13, v1
	s_cmp_gt_u32 s13, 11
	s_cselect_b32 s13, -1, 0
	s_cmp_eq_u32 s8, 0
	s_cselect_b32 s8, s13, -1
	s_cmp_lg_u32 s8, 0
	s_cselect_b32 s9, s9, s10
	s_cselect_b32 s8, s12, s11
	s_add_u32 s18, s9, 1
	s_addc_u32 s19, s8, 0
	v_mov_b32_e32 v1, s18
	v_mov_b32_e32 v2, s19
	v_cmp_lt_u64_e32 vcc, s[6:7], v[1:2]
	s_cbranch_vccnz .LBB0_2
; %bb.1:
	v_cvt_f32_u32_e32 v1, s18
	s_sub_i32 s8, 0, s18
	s_mov_b32 s21, s7
	v_rcp_iflag_f32_e32 v1, v1
	v_mul_f32_e32 v1, 0x4f7ffffe, v1
	v_cvt_u32_f32_e32 v1, v1
	v_readfirstlane_b32 s9, v1
	s_mul_i32 s8, s8, s9
	s_mul_hi_u32 s8, s9, s8
	s_add_i32 s9, s9, s8
	s_mul_hi_u32 s8, s6, s9
	s_mul_i32 s10, s8, s18
	s_sub_i32 s10, s6, s10
	s_add_i32 s9, s8, 1
	s_sub_i32 s11, s10, s18
	s_cmp_ge_u32 s10, s18
	s_cselect_b32 s8, s9, s8
	s_cselect_b32 s10, s11, s10
	s_add_i32 s9, s8, 1
	s_cmp_ge_u32 s10, s18
	s_cselect_b32 s20, s9, s8
.LBB0_2:
	s_load_dwordx2 s[8:9], s[0:1], 0x10
	s_load_dwordx2 s[10:11], s[2:3], 0x8
	s_mov_b64 s[0:1], s[20:21]
	s_waitcnt lgkmcnt(0)
	v_mov_b32_e32 v1, s8
	v_mov_b32_e32 v2, s9
	v_cmp_lt_u64_e32 vcc, s[20:21], v[1:2]
	s_cbranch_vccnz .LBB0_4
; %bb.3:
	v_cvt_f32_u32_e32 v1, s8
	s_sub_i32 s0, 0, s8
	v_rcp_iflag_f32_e32 v1, v1
	v_mul_f32_e32 v1, 0x4f7ffffe, v1
	v_cvt_u32_f32_e32 v1, v1
	v_readfirstlane_b32 s1, v1
	s_mul_i32 s0, s0, s1
	s_mul_hi_u32 s0, s1, s0
	s_add_i32 s1, s1, s0
	s_mul_hi_u32 s0, s20, s1
	s_mul_i32 s0, s0, s8
	s_sub_i32 s0, s20, s0
	s_sub_i32 s1, s0, s8
	s_cmp_ge_u32 s0, s8
	s_cselect_b32 s0, s1, s0
	s_sub_i32 s1, s0, s8
	s_cmp_ge_u32 s0, s8
	s_cselect_b32 s0, s1, s0
.LBB0_4:
	s_mul_i32 s1, s8, s19
	s_mul_hi_u32 s16, s8, s18
	s_add_i32 s1, s16, s1
	s_mul_i32 s9, s9, s18
	s_mul_i32 s16, s8, s18
	s_load_dwordx2 s[12:13], s[4:5], 0x50
	s_add_i32 s17, s1, s9
	s_load_dwordx2 s[8:9], s[2:3], 0x0
	s_load_dwordx2 s[22:23], s[2:3], 0x10
	v_mov_b32_e32 v1, s16
	v_mov_b32_e32 v2, s17
	v_cmp_lt_u64_e32 vcc, s[6:7], v[1:2]
	s_mov_b64 s[24:25], 0
	s_cbranch_vccnz .LBB0_6
; %bb.5:
	v_cvt_f32_u32_e32 v1, s16
	s_sub_i32 s1, 0, s16
	v_rcp_iflag_f32_e32 v1, v1
	v_mul_f32_e32 v1, 0x4f7ffffe, v1
	v_cvt_u32_f32_e32 v1, v1
	v_readfirstlane_b32 s7, v1
	s_mul_i32 s1, s1, s7
	s_mul_hi_u32 s1, s7, s1
	s_add_i32 s7, s7, s1
	s_mul_hi_u32 s1, s6, s7
	s_mul_i32 s17, s1, s16
	s_sub_i32 s17, s6, s17
	s_add_i32 s7, s1, 1
	s_sub_i32 s21, s17, s16
	s_cmp_ge_u32 s17, s16
	s_cselect_b32 s1, s7, s1
	s_cselect_b32 s17, s21, s17
	s_add_i32 s7, s1, 1
	s_cmp_ge_u32 s17, s16
	s_cselect_b32 s24, s7, s1
.LBB0_6:
	s_mul_i32 s1, s20, s19
	s_mul_hi_u32 s7, s20, s18
	s_add_i32 s7, s7, s1
	s_mul_i32 s1, s20, s18
	s_sub_u32 s1, s6, s1
	s_subb_u32 s6, 0, s7
	s_mul_i32 s6, s6, 12
	s_mul_hi_u32 s7, s1, 12
	s_load_dwordx2 s[2:3], s[2:3], 0x18
	s_add_i32 s6, s7, s6
	s_mul_i32 s1, s1, 12
	s_mul_i32 s7, s10, s6
	s_mul_hi_u32 s18, s10, s1
	s_add_i32 s7, s18, s7
	s_mul_i32 s18, s11, s1
	s_waitcnt lgkmcnt(0)
	s_mul_i32 s19, s23, s0
	s_mul_hi_u32 s20, s22, s0
	s_add_i32 s7, s7, s18
	s_mul_i32 s18, s10, s1
	s_add_i32 s20, s20, s19
	s_mul_i32 s0, s22, s0
	s_add_u32 s0, s0, s18
	s_mul_i32 s3, s3, s24
	s_mul_hi_u32 s18, s2, s24
	v_mul_u32_u24_e32 v1, 0x1556, v0
	s_addc_u32 s7, s20, s7
	s_add_i32 s18, s18, s3
	s_mul_i32 s2, s2, s24
	v_lshrrev_b32_e32 v24, 16, v1
	s_add_u32 s2, s2, s0
	v_mul_lo_u16_e32 v1, 12, v24
	s_addc_u32 s3, s18, s7
	v_sub_u16_e32 v23, v0, v1
	s_load_dwordx2 s[16:17], s[4:5], 0x0
	v_mov_b32_e32 v2, s6
	v_add_co_u32_e32 v1, vcc, s1, v23
	s_add_u32 s0, s1, 12
	v_mov_b32_e32 v3, s14
	v_addc_co_u32_e32 v2, vcc, 0, v2, vcc
	s_addc_u32 s1, s6, 0
	v_mov_b32_e32 v4, s15
	v_cmp_gt_u64_e32 vcc, s[0:1], v[3:4]
	v_cmp_le_u64_e64 s[0:1], s[0:1], v[3:4]
	s_cbranch_vccz .LBB0_12
; %bb.7:
	v_cmp_le_u64_e32 vcc, s[14:15], v[1:2]
                                        ; implicit-def: $vgpr25
                                        ; implicit-def: $vgpr26
                                        ; implicit-def: $vgpr27
                                        ; implicit-def: $vgpr28
	s_and_saveexec_b64 s[6:7], vcc
	s_xor_b64 s[6:7], exec, s[6:7]
; %bb.8:
	v_add_u32_e32 v25, 20, v24
	v_add_u32_e32 v26, 40, v24
	v_add_u32_e32 v27, 60, v24
	v_add_u32_e32 v28, 0x50, v24
; %bb.9:
	s_or_saveexec_b64 s[6:7], s[6:7]
                                        ; implicit-def: $vgpr3
                                        ; implicit-def: $vgpr5
                                        ; implicit-def: $vgpr11
                                        ; implicit-def: $vgpr13
                                        ; implicit-def: $vgpr21
                                        ; implicit-def: $vgpr19
                                        ; implicit-def: $vgpr15
                                        ; implicit-def: $vgpr17
                                        ; implicit-def: $vgpr7
                                        ; implicit-def: $vgpr9
	s_xor_b64 exec, exec, s[6:7]
	s_cbranch_execz .LBB0_11
; %bb.10:
	v_mad_u64_u32 v[3:4], s[18:19], s10, v23, 0
	v_mad_u64_u32 v[5:6], s[18:19], s8, v24, 0
	v_add_u32_e32 v10, 0x64, v24
	v_add_u32_e32 v25, 20, v24
	v_mad_u64_u32 v[7:8], s[18:19], s11, v23, v[4:5]
	v_mov_b32_e32 v4, v6
	v_mad_u64_u32 v[8:9], s[18:19], s9, v24, v[4:5]
	s_lshl_b64 s[18:19], s[2:3], 3
	s_add_u32 s20, s12, s18
	s_addc_u32 s18, s13, s19
	v_mov_b32_e32 v4, v7
	v_mov_b32_e32 v6, v8
	;; [unrolled: 1-line block ×3, first 2 shown]
	v_mad_u64_u32 v[7:8], s[18:19], s8, v10, 0
	v_lshlrev_b64 v[3:4], 3, v[3:4]
	v_add_u32_e32 v26, 40, v24
	v_add_co_u32_e32 v38, vcc, s20, v3
	v_addc_co_u32_e32 v39, vcc, v9, v4, vcc
	v_lshlrev_b64 v[3:4], 3, v[5:6]
	v_mov_b32_e32 v5, v8
	v_mad_u64_u32 v[5:6], s[18:19], s9, v10, v[5:6]
	v_mad_u64_u32 v[9:10], s[18:19], s8, v25, 0
	v_add_co_u32_e32 v11, vcc, v38, v3
	v_mov_b32_e32 v8, v5
	v_mov_b32_e32 v5, v10
	v_addc_co_u32_e32 v12, vcc, v39, v4, vcc
	v_lshlrev_b64 v[3:4], 3, v[7:8]
	v_mad_u64_u32 v[5:6], s[18:19], s9, v25, v[5:6]
	v_add_u32_e32 v8, 0x78, v24
	v_mad_u64_u32 v[6:7], s[18:19], s8, v8, 0
	v_mov_b32_e32 v10, v5
	v_add_co_u32_e32 v13, vcc, v38, v3
	v_mov_b32_e32 v5, v7
	v_mad_u64_u32 v[7:8], s[18:19], s9, v8, v[5:6]
	v_addc_co_u32_e32 v14, vcc, v39, v4, vcc
	v_lshlrev_b64 v[3:4], 3, v[9:10]
	v_mad_u64_u32 v[17:18], s[18:19], s8, v26, 0
	v_add_co_u32_e32 v15, vcc, v38, v3
	v_addc_co_u32_e32 v16, vcc, v39, v4, vcc
	v_lshlrev_b64 v[3:4], 3, v[6:7]
	v_add_u32_e32 v27, 60, v24
	v_add_co_u32_e32 v19, vcc, v38, v3
	v_mov_b32_e32 v3, v18
	v_mad_u64_u32 v[21:22], s[18:19], s9, v26, v[3:4]
	v_add_u32_e32 v22, 0x8c, v24
	v_mad_u64_u32 v[28:29], s[18:19], s8, v22, 0
	v_addc_co_u32_e32 v20, vcc, v39, v4, vcc
	global_load_dwordx2 v[9:10], v[11:12], off
	global_load_dwordx2 v[3:4], v[13:14], off
	;; [unrolled: 1-line block ×4, first 2 shown]
	v_mov_b32_e32 v13, v29
	v_mad_u64_u32 v[13:14], s[18:19], s9, v22, v[13:14]
	v_mad_u64_u32 v[14:15], s[18:19], s8, v27, 0
	v_mov_b32_e32 v18, v21
	v_mov_b32_e32 v29, v13
	;; [unrolled: 1-line block ×3, first 2 shown]
	v_lshlrev_b64 v[11:12], 3, v[17:18]
	v_mad_u64_u32 v[15:16], s[18:19], s9, v27, v[13:14]
	v_or_b32_e32 v18, 0xa0, v24
	v_mad_u64_u32 v[16:17], s[18:19], s8, v18, 0
	v_add_co_u32_e32 v19, vcc, v38, v11
	v_addc_co_u32_e32 v20, vcc, v39, v12, vcc
	v_lshlrev_b64 v[11:12], 3, v[28:29]
	v_mov_b32_e32 v13, v17
	v_add_co_u32_e32 v21, vcc, v38, v11
	v_addc_co_u32_e32 v22, vcc, v39, v12, vcc
	v_lshlrev_b64 v[11:12], 3, v[14:15]
	v_mad_u64_u32 v[13:14], s[18:19], s9, v18, v[13:14]
	v_add_u32_e32 v28, 0x50, v24
	v_mad_u64_u32 v[31:32], s[18:19], s8, v28, 0
	v_add_co_u32_e32 v29, vcc, v38, v11
	v_mov_b32_e32 v17, v13
	v_addc_co_u32_e32 v30, vcc, v39, v12, vcc
	v_lshlrev_b64 v[11:12], 3, v[16:17]
	v_add_u32_e32 v40, 0xb4, v24
	v_add_co_u32_e32 v33, vcc, v38, v11
	v_mov_b32_e32 v11, v32
	v_mad_u64_u32 v[35:36], s[18:19], s9, v28, v[11:12]
	v_mad_u64_u32 v[36:37], s[18:19], s8, v40, 0
	v_addc_co_u32_e32 v34, vcc, v39, v12, vcc
	global_load_dwordx2 v[17:18], v[19:20], off
	global_load_dwordx2 v[11:12], v[21:22], off
	;; [unrolled: 1-line block ×4, first 2 shown]
	v_mov_b32_e32 v21, v37
	v_mad_u64_u32 v[21:22], s[18:19], s9, v40, v[21:22]
	v_mov_b32_e32 v32, v35
	v_lshlrev_b64 v[19:20], 3, v[31:32]
	v_mov_b32_e32 v37, v21
	v_add_co_u32_e32 v29, vcc, v38, v19
	v_addc_co_u32_e32 v30, vcc, v39, v20, vcc
	v_lshlrev_b64 v[19:20], 3, v[36:37]
	v_add_co_u32_e32 v31, vcc, v38, v19
	v_addc_co_u32_e32 v32, vcc, v39, v20, vcc
	global_load_dwordx2 v[19:20], v[29:30], off
	global_load_dwordx2 v[21:22], v[31:32], off
.LBB0_11:
	s_or_b64 exec, exec, s[6:7]
	s_cbranch_execz .LBB0_13
	s_branch .LBB0_14
.LBB0_12:
                                        ; implicit-def: $vgpr3
                                        ; implicit-def: $vgpr5
                                        ; implicit-def: $vgpr11
                                        ; implicit-def: $vgpr13
                                        ; implicit-def: $vgpr21
                                        ; implicit-def: $vgpr19
                                        ; implicit-def: $vgpr15
                                        ; implicit-def: $vgpr17
                                        ; implicit-def: $vgpr25
                                        ; implicit-def: $vgpr26
                                        ; implicit-def: $vgpr27
                                        ; implicit-def: $vgpr28
                                        ; implicit-def: $vgpr7
                                        ; implicit-def: $vgpr9
.LBB0_13:
	s_waitcnt vmcnt(8)
	v_mad_u64_u32 v[3:4], s[6:7], s10, v23, 0
	s_waitcnt vmcnt(6)
	v_mad_u64_u32 v[5:6], s[6:7], s8, v24, 0
	v_add_u32_e32 v10, 0x64, v24
	v_add_u32_e32 v25, 20, v24
	v_mad_u64_u32 v[7:8], s[6:7], s11, v23, v[4:5]
	v_mov_b32_e32 v4, v6
	v_mad_u64_u32 v[8:9], s[6:7], s9, v24, v[4:5]
	s_lshl_b64 s[6:7], s[2:3], 3
	s_add_u32 s18, s12, s6
	s_addc_u32 s6, s13, s7
	v_mov_b32_e32 v4, v7
	v_mov_b32_e32 v6, v8
	;; [unrolled: 1-line block ×3, first 2 shown]
	v_mad_u64_u32 v[7:8], s[6:7], s8, v10, 0
	v_lshlrev_b64 v[3:4], 3, v[3:4]
	v_add_u32_e32 v26, 40, v24
	s_waitcnt vmcnt(4)
	v_add_co_u32_e32 v11, vcc, s18, v3
	v_addc_co_u32_e32 v12, vcc, v9, v4, vcc
	v_lshlrev_b64 v[3:4], 3, v[5:6]
	v_mov_b32_e32 v5, v8
	v_mad_u64_u32 v[5:6], s[6:7], s9, v10, v[5:6]
	v_mad_u64_u32 v[9:10], s[6:7], s8, v25, 0
	v_add_co_u32_e32 v29, vcc, v11, v3
	v_mov_b32_e32 v8, v5
	v_mov_b32_e32 v5, v10
	v_addc_co_u32_e32 v30, vcc, v12, v4, vcc
	v_lshlrev_b64 v[3:4], 3, v[7:8]
	v_mad_u64_u32 v[5:6], s[6:7], s9, v25, v[5:6]
	v_add_u32_e32 v8, 0x78, v24
	v_mad_u64_u32 v[6:7], s[6:7], s8, v8, 0
	v_mov_b32_e32 v10, v5
	v_add_co_u32_e32 v31, vcc, v11, v3
	v_mov_b32_e32 v5, v7
	v_mad_u64_u32 v[7:8], s[6:7], s9, v8, v[5:6]
	v_addc_co_u32_e32 v32, vcc, v12, v4, vcc
	v_lshlrev_b64 v[3:4], 3, v[9:10]
	v_mad_u64_u32 v[8:9], s[6:7], s8, v26, 0
	v_add_co_u32_e32 v33, vcc, v11, v3
	v_mov_b32_e32 v5, v9
	v_addc_co_u32_e32 v34, vcc, v12, v4, vcc
	v_lshlrev_b64 v[3:4], 3, v[6:7]
	v_mad_u64_u32 v[5:6], s[6:7], s9, v26, v[5:6]
	v_add_u32_e32 v10, 0x8c, v24
	v_mad_u64_u32 v[6:7], s[6:7], s8, v10, 0
	v_add_co_u32_e32 v35, vcc, v11, v3
	v_mov_b32_e32 v9, v5
	v_mov_b32_e32 v5, v7
	v_addc_co_u32_e32 v36, vcc, v12, v4, vcc
	v_lshlrev_b64 v[3:4], 3, v[8:9]
	v_mad_u64_u32 v[7:8], s[6:7], s9, v10, v[5:6]
	v_add_u32_e32 v27, 60, v24
	v_mad_u64_u32 v[8:9], s[6:7], s8, v27, 0
	v_add_co_u32_e32 v37, vcc, v11, v3
	v_mov_b32_e32 v5, v9
	v_addc_co_u32_e32 v38, vcc, v12, v4, vcc
	v_lshlrev_b64 v[3:4], 3, v[6:7]
	v_mad_u64_u32 v[5:6], s[6:7], s9, v27, v[5:6]
	v_or_b32_e32 v10, 0xa0, v24
	v_mad_u64_u32 v[6:7], s[6:7], s8, v10, 0
	v_add_co_u32_e32 v39, vcc, v11, v3
	v_mov_b32_e32 v9, v5
	v_mov_b32_e32 v5, v7
	v_addc_co_u32_e32 v40, vcc, v12, v4, vcc
	v_lshlrev_b64 v[3:4], 3, v[8:9]
	v_mad_u64_u32 v[7:8], s[6:7], s9, v10, v[5:6]
	v_add_u32_e32 v28, 0x50, v24
	v_mad_u64_u32 v[8:9], s[6:7], s8, v28, 0
	v_add_co_u32_e32 v41, vcc, v11, v3
	v_mov_b32_e32 v5, v9
	v_addc_co_u32_e32 v42, vcc, v12, v4, vcc
	v_lshlrev_b64 v[3:4], 3, v[6:7]
	v_mad_u64_u32 v[5:6], s[6:7], s9, v28, v[5:6]
	v_add_u32_e32 v10, 0xb4, v24
	v_mad_u64_u32 v[6:7], s[6:7], s8, v10, 0
	v_add_co_u32_e32 v43, vcc, v11, v3
	v_mov_b32_e32 v9, v5
	v_mov_b32_e32 v5, v7
	v_addc_co_u32_e32 v44, vcc, v12, v4, vcc
	v_lshlrev_b64 v[3:4], 3, v[8:9]
	v_mad_u64_u32 v[7:8], s[6:7], s9, v10, v[5:6]
	v_add_co_u32_e32 v45, vcc, v11, v3
	v_addc_co_u32_e32 v46, vcc, v12, v4, vcc
	v_lshlrev_b64 v[3:4], 3, v[6:7]
	v_add_co_u32_e32 v47, vcc, v11, v3
	v_addc_co_u32_e32 v48, vcc, v12, v4, vcc
	global_load_dwordx2 v[9:10], v[29:30], off
	global_load_dwordx2 v[3:4], v[31:32], off
	;; [unrolled: 1-line block ×10, first 2 shown]
.LBB0_14:
	s_waitcnt vmcnt(6)
	v_sub_f32_e32 v5, v7, v5
	v_sub_f32_e32 v6, v8, v6
	v_sub_f32_e32 v3, v9, v3
	v_sub_f32_e32 v4, v10, v4
	v_fma_f32 v29, v7, 2.0, -v5
	v_fma_f32 v30, v8, 2.0, -v6
	v_mul_u32_u24_e32 v7, 0xc0, v24
	v_lshlrev_b32_e32 v8, 3, v23
	v_fma_f32 v9, v9, 2.0, -v3
	v_fma_f32 v10, v10, 2.0, -v4
	v_add3_u32 v7, 0, v7, v8
	ds_write2_b64 v7, v[9:10], v[3:4] offset1:12
	v_mul_i32_i24_e32 v3, 0xc0, v25
	v_add3_u32 v3, 0, v3, v8
	ds_write2_b64 v3, v[29:30], v[5:6] offset1:12
	v_mul_i32_i24_e32 v5, 0xc0, v27
	s_waitcnt vmcnt(4)
	v_sub_f32_e32 v11, v17, v11
	v_sub_f32_e32 v12, v18, v12
	s_waitcnt vmcnt(2)
	v_sub_f32_e32 v13, v15, v13
	v_sub_f32_e32 v14, v16, v14
	s_waitcnt vmcnt(0)
	v_sub_f32_e32 v21, v19, v21
	v_sub_f32_e32 v22, v20, v22
	v_mul_i32_i24_e32 v4, 0xc0, v26
	v_add3_u32 v6, 0, v5, v8
	v_mul_i32_i24_e32 v5, 0xc0, v28
	v_and_b32_e32 v39, 1, v24
	v_fma_f32 v17, v17, 2.0, -v11
	v_fma_f32 v18, v18, 2.0, -v12
	;; [unrolled: 1-line block ×6, first 2 shown]
	v_add3_u32 v4, 0, v4, v8
	v_add3_u32 v9, 0, v5, v8
	v_lshlrev_b32_e32 v5, 3, v39
	ds_write2_b64 v4, v[17:18], v[11:12] offset1:12
	ds_write2_b64 v6, v[15:16], v[13:14] offset1:12
	;; [unrolled: 1-line block ×3, first 2 shown]
	s_waitcnt lgkmcnt(0)
	s_barrier
	global_load_dwordx2 v[19:20], v5, s[16:17]
	s_movk_i32 s6, 0xffa0
	v_lshlrev_b32_e32 v5, 1, v24
	s_movk_i32 s7, 0x7ffc
	v_lshlrev_b32_e32 v10, 1, v25
	v_and_or_b32 v11, v5, 60, v39
	v_and_or_b32 v10, v10, s7, v39
	v_mad_i32_i24 v5, v24, s6, v7
	v_mad_i32_i24 v4, v26, s6, v4
	v_mad_i32_i24 v7, v28, s6, v9
	v_mul_u32_u24_e32 v11, 0x60, v11
	v_mul_u32_u24_e32 v12, 0x60, v10
	v_add_u32_e32 v9, 0x2580, v5
	v_mad_i32_i24 v3, v25, s6, v3
	v_mad_i32_i24 v6, v27, s6, v6
	ds_read_b64 v[21:22], v5
	ds_read_b64 v[29:30], v5 offset:17280
	v_add_u32_e32 v10, 0x3480, v5
	v_add3_u32 v40, 0, v11, v8
	ds_read_b64 v[31:32], v4
	ds_read_b64 v[33:34], v3
	;; [unrolled: 1-line block ×4, first 2 shown]
	v_add3_u32 v41, 0, v12, v8
	ds_read2_b64 v[11:14], v9 offset1:240
	ds_read2_b64 v[15:18], v10 offset1:240
	s_waitcnt vmcnt(0) lgkmcnt(0)
	s_barrier
	v_lshlrev_b32_e32 v26, 1, v26
	v_and_or_b32 v26, v26, s7, v39
	v_mul_u32_u24_e32 v26, 0x60, v26
	v_add3_u32 v26, 0, v26, v8
	v_lshrrev_b32_e32 v25, 2, v25
	v_mul_lo_u32 v25, v25, 20
	s_movk_i32 s6, 0x60
	v_cmp_gt_u64_e32 vcc, s[14:15], v[1:2]
	s_or_b64 s[0:1], s[0:1], vcc
	v_mul_f32_e32 v42, v20, v12
	v_mul_f32_e32 v43, v20, v11
	;; [unrolled: 1-line block ×4, first 2 shown]
	v_fmac_f32_e32 v42, v19, v11
	v_fma_f32 v12, v19, v12, -v43
	v_fmac_f32_e32 v44, v19, v13
	v_fma_f32 v14, v19, v14, -v45
	v_sub_f32_e32 v11, v21, v42
	v_sub_f32_e32 v12, v22, v12
	;; [unrolled: 1-line block ×4, first 2 shown]
	v_fma_f32 v21, v21, 2.0, -v11
	v_fma_f32 v22, v22, 2.0, -v12
	;; [unrolled: 1-line block ×4, first 2 shown]
	ds_write2_b64 v40, v[21:22], v[11:12] offset1:24
	ds_write2_b64 v41, v[33:34], v[13:14] offset1:24
	v_mul_f32_e32 v11, v20, v16
	v_mul_f32_e32 v12, v20, v15
	v_fmac_f32_e32 v11, v19, v15
	v_fma_f32 v12, v19, v16, -v12
	v_mul_f32_e32 v13, v20, v17
	v_fma_f32 v16, v19, v18, -v13
	v_mul_f32_e32 v13, v20, v29
	v_sub_f32_e32 v11, v31, v11
	v_sub_f32_e32 v12, v32, v12
	v_mul_f32_e32 v15, v20, v18
	v_mul_f32_e32 v21, v20, v30
	v_fma_f32 v20, v19, v30, -v13
	v_fma_f32 v13, v31, 2.0, -v11
	v_fma_f32 v14, v32, 2.0, -v12
	ds_write2_b64 v26, v[13:14], v[11:12] offset1:24
	v_lshlrev_b32_e32 v11, 1, v27
	v_fmac_f32_e32 v15, v19, v17
	v_and_or_b32 v11, v11, s7, v39
	v_sub_f32_e32 v15, v35, v15
	v_sub_f32_e32 v16, v36, v16
	v_mul_u32_u24_e32 v11, 0x60, v11
	v_fma_f32 v17, v35, 2.0, -v15
	v_fma_f32 v18, v36, 2.0, -v16
	v_add3_u32 v11, 0, v11, v8
	ds_write2_b64 v11, v[17:18], v[15:16] offset1:24
	v_lshlrev_b32_e32 v11, 1, v28
	v_fmac_f32_e32 v21, v19, v29
	v_and_or_b32 v11, v11, s7, v39
	v_sub_f32_e32 v19, v37, v21
	v_sub_f32_e32 v20, v38, v20
	v_mul_u32_u24_e32 v11, 0x60, v11
	v_fma_f32 v21, v37, 2.0, -v19
	v_fma_f32 v22, v38, 2.0, -v20
	v_add3_u32 v11, 0, v11, v8
	v_and_b32_e32 v42, 3, v24
	ds_write2_b64 v11, v[21:22], v[19:20] offset1:24
	v_lshlrev_b32_e32 v19, 5, v42
	s_waitcnt lgkmcnt(0)
	s_barrier
	global_load_dwordx4 v[11:14], v19, s[16:17] offset:16
	global_load_dwordx4 v[15:18], v19, s[16:17] offset:32
	ds_read_b64 v[30:31], v4
	ds_read_b64 v[32:33], v7
	ds_read2_b64 v[19:22], v9 offset1:240
	ds_read2_b64 v[26:29], v10 offset1:240
	ds_read_b64 v[34:35], v5 offset:17280
	ds_read_b64 v[36:37], v3
	ds_read_b64 v[38:39], v5 offset:5760
	ds_read_b64 v[40:41], v5
	s_waitcnt vmcnt(0) lgkmcnt(0)
	s_barrier
	v_or_b32_e32 v25, v25, v42
	v_mul_lo_u32 v25, v25, s6
	v_mul_f32_e32 v43, v12, v31
	v_mul_f32_e32 v44, v12, v30
	;; [unrolled: 1-line block ×13, first 2 shown]
	v_fmac_f32_e32 v43, v11, v30
	v_fma_f32 v30, v11, v31, -v44
	v_fmac_f32_e32 v45, v13, v32
	v_fma_f32 v31, v13, v33, -v46
	;; [unrolled: 2-line block ×3, first 2 shown]
	v_fmac_f32_e32 v48, v13, v19
	v_fmac_f32_e32 v49, v15, v21
	v_fma_f32 v19, v15, v22, -v50
	v_mul_f32_e32 v11, v26, v16
	v_fma_f32 v20, v13, v20, -v14
	v_fmac_f32_e32 v51, v17, v28
	v_fma_f32 v21, v17, v29, -v52
	v_fmac_f32_e32 v53, v26, v15
	v_fma_f32 v26, v27, v15, -v11
	v_mul_f32_e32 v11, v34, v18
	v_add_f32_e32 v13, v45, v49
	v_add_f32_e32 v14, v31, v19
	v_mul_f32_e32 v27, v35, v18
	v_fma_f32 v28, v35, v17, -v11
	v_sub_f32_e32 v11, v43, v45
	v_sub_f32_e32 v12, v51, v49
	v_fma_f32 v13, -0.5, v13, v40
	v_fma_f32 v14, -0.5, v14, v41
	v_sub_f32_e32 v15, v30, v31
	v_sub_f32_e32 v16, v21, v19
	v_lshrrev_b32_e32 v35, 2, v24
	v_fmac_f32_e32 v27, v34, v17
	v_add_f32_e32 v17, v11, v12
	v_add_f32_e32 v11, v40, v43
	;; [unrolled: 1-line block ×4, first 2 shown]
	v_sub_f32_e32 v22, v30, v21
	v_mov_b32_e32 v15, v13
	v_mov_b32_e32 v16, v14
	v_sub_f32_e32 v33, v43, v51
	v_mul_u32_u24_e32 v35, 20, v35
	v_add_f32_e32 v11, v11, v45
	v_add_f32_e32 v12, v12, v31
	v_fmac_f32_e32 v15, 0xbf737871, v22
	v_sub_f32_e32 v29, v31, v19
	v_fmac_f32_e32 v16, 0x3f737871, v33
	v_sub_f32_e32 v34, v45, v49
	v_or_b32_e32 v35, v35, v42
	v_add_f32_e32 v11, v11, v49
	v_add_f32_e32 v12, v12, v19
	v_fmac_f32_e32 v15, 0xbf167918, v29
	v_fmac_f32_e32 v16, 0x3f167918, v34
	v_mul_u32_u24_e32 v35, 0x60, v35
	v_add_f32_e32 v11, v11, v51
	v_add_f32_e32 v12, v12, v21
	v_fmac_f32_e32 v15, 0x3e9e377a, v17
	v_fmac_f32_e32 v16, 0x3e9e377a, v18
	v_add3_u32 v35, 0, v35, v8
	ds_write2_b64 v35, v[11:12], v[15:16] offset1:48
	v_add_f32_e32 v11, v43, v51
	v_fma_f32 v40, -0.5, v11, v40
	v_sub_f32_e32 v11, v45, v43
	v_sub_f32_e32 v12, v49, v51
	v_add_f32_e32 v12, v11, v12
	v_mov_b32_e32 v11, v40
	v_fmac_f32_e32 v11, 0x3f737871, v29
	v_fmac_f32_e32 v40, 0xbf737871, v29
	;; [unrolled: 1-line block ×6, first 2 shown]
	v_add_f32_e32 v12, v30, v21
	v_fmac_f32_e32 v41, -0.5, v12
	v_sub_f32_e32 v12, v31, v30
	v_sub_f32_e32 v15, v19, v21
	v_add_f32_e32 v15, v12, v15
	v_mov_b32_e32 v12, v41
	v_fmac_f32_e32 v12, 0xbf737871, v34
	v_fmac_f32_e32 v41, 0x3f737871, v34
	;; [unrolled: 1-line block ×6, first 2 shown]
	v_sub_f32_e32 v15, v47, v48
	v_sub_f32_e32 v16, v27, v53
	v_fmac_f32_e32 v13, 0x3f737871, v22
	v_fmac_f32_e32 v14, 0xbf737871, v33
	v_add_f32_e32 v16, v15, v16
	v_add_f32_e32 v15, v48, v53
	v_fmac_f32_e32 v13, 0x3f167918, v29
	v_fmac_f32_e32 v14, 0xbf167918, v34
	v_fma_f32 v15, -0.5, v15, v36
	v_fmac_f32_e32 v13, 0x3e9e377a, v17
	v_fmac_f32_e32 v14, 0x3e9e377a, v18
	v_sub_f32_e32 v18, v32, v28
	v_mov_b32_e32 v17, v15
	v_fmac_f32_e32 v17, 0xbf737871, v18
	v_sub_f32_e32 v21, v20, v26
	v_fmac_f32_e32 v15, 0x3f737871, v18
	v_fmac_f32_e32 v17, 0xbf167918, v21
	;; [unrolled: 1-line block ×3, first 2 shown]
	v_add_f32_e32 v19, v47, v27
	v_fmac_f32_e32 v17, 0x3e9e377a, v16
	v_fmac_f32_e32 v15, 0x3e9e377a, v16
	v_add_f32_e32 v16, v36, v47
	v_fma_f32 v36, -0.5, v19, v36
	v_sub_f32_e32 v19, v48, v47
	v_sub_f32_e32 v22, v53, v27
	v_add_f32_e32 v22, v19, v22
	v_mov_b32_e32 v19, v36
	v_fmac_f32_e32 v19, 0x3f737871, v21
	v_fmac_f32_e32 v36, 0xbf737871, v21
	;; [unrolled: 1-line block ×4, first 2 shown]
	v_add_f32_e32 v16, v16, v48
	v_add_f32_e32 v18, v37, v32
	;; [unrolled: 1-line block ×7, first 2 shown]
	v_fmac_f32_e32 v19, 0x3e9e377a, v22
	v_fmac_f32_e32 v36, 0x3e9e377a, v22
	v_add_f32_e32 v22, v18, v28
	v_fma_f32 v16, -0.5, v16, v37
	v_sub_f32_e32 v18, v32, v20
	v_sub_f32_e32 v30, v28, v26
	;; [unrolled: 1-line block ×3, first 2 shown]
	v_add_f32_e32 v30, v18, v30
	v_mov_b32_e32 v18, v16
	v_sub_f32_e32 v29, v48, v53
	v_fmac_f32_e32 v18, 0x3f737871, v27
	v_fmac_f32_e32 v16, 0xbf737871, v27
	;; [unrolled: 1-line block ×6, first 2 shown]
	v_add_f32_e32 v30, v32, v28
	v_fmac_f32_e32 v37, -0.5, v30
	v_sub_f32_e32 v20, v20, v32
	v_sub_f32_e32 v26, v26, v28
	v_add_f32_e32 v26, v20, v26
	v_mov_b32_e32 v20, v37
	v_fmac_f32_e32 v20, 0xbf737871, v29
	v_fmac_f32_e32 v37, 0x3f737871, v29
	;; [unrolled: 1-line block ×4, first 2 shown]
	v_add3_u32 v8, 0, v25, v8
	v_fmac_f32_e32 v20, 0x3e9e377a, v26
	v_fmac_f32_e32 v37, 0x3e9e377a, v26
	ds_write2_b64 v35, v[11:12], v[40:41] offset0:96 offset1:144
	ds_write_b64 v35, v[13:14] offset:1536
	ds_write2_b64 v8, v[21:22], v[17:18] offset1:48
	ds_write2_b64 v8, v[19:20], v[36:37] offset0:96 offset1:144
	ds_write_b64 v8, v[15:16] offset:1536
	s_waitcnt lgkmcnt(0)
	s_barrier
	s_and_saveexec_b64 s[6:7], s[0:1]
	s_cbranch_execz .LBB0_16
; %bb.15:
	v_mul_lo_u16_e32 v2, 13, v24
	v_mov_b32_e32 v8, 20
	v_mul_lo_u16_sdwa v2, v2, v8 dst_sel:DWORD dst_unused:UNUSED_PAD src0_sel:BYTE_1 src1_sel:DWORD
	v_sub_u16_e32 v2, v24, v2
	v_and_b32_e32 v12, 0xff, v2
	v_mul_u32_u24_e32 v2, 9, v12
	v_lshlrev_b32_e32 v2, 3, v2
	global_load_dwordx4 v[16:19], v2, s[16:17] offset:176
	global_load_dwordx4 v[36:39], v2, s[16:17] offset:192
	;; [unrolled: 1-line block ×4, first 2 shown]
	global_load_dwordx2 v[20:21], v2, s[16:17] offset:208
	v_add_u32_e32 v2, 0xb4, v12
	v_mul_lo_u32 v2, v1, v2
	s_load_dwordx2 s[0:1], s[4:5], 0x8
	v_or_b32_e32 v8, 0xa0, v12
	v_mov_b32_e32 v14, 0x1000
	v_mul_lo_u32 v13, v1, v8
	v_bfe_u32 v8, v2, 16, 8
	ds_read2_b64 v[40:43], v10 offset1:240
	ds_read2_b64 v[53:56], v9 offset1:240
	v_mov_b32_e32 v15, 3
	v_add_u32_e32 v9, 0x8c, v12
	v_lshl_or_b32 v8, v8, 3, v14
	ds_read_b64 v[10:11], v7
	ds_read_b64 v[6:7], v6
	v_mul_lo_u32 v22, v1, v9
	v_lshlrev_b32_sdwa v9, v15, v2 dst_sel:DWORD dst_unused:UNUSED_PAD src0_sel:DWORD src1_sel:BYTE_0
	v_lshlrev_b32_sdwa v2, v15, v2 dst_sel:DWORD dst_unused:UNUSED_PAD src0_sel:DWORD src1_sel:BYTE_1
	s_waitcnt lgkmcnt(0)
	global_load_dwordx2 v[57:58], v8, s[0:1]
	global_load_dwordx2 v[59:60], v9, s[0:1]
	global_load_dwordx2 v[61:62], v2, s[0:1] offset:2048
	v_lshlrev_b32_sdwa v2, v15, v13 dst_sel:DWORD dst_unused:UNUSED_PAD src0_sel:DWORD src1_sel:BYTE_0
	v_lshlrev_b32_sdwa v8, v15, v13 dst_sel:DWORD dst_unused:UNUSED_PAD src0_sel:DWORD src1_sel:BYTE_1
	global_load_dwordx2 v[63:64], v2, s[0:1]
	global_load_dwordx2 v[65:66], v8, s[0:1] offset:2048
	v_bfe_u32 v24, v22, 16, 8
	v_lshlrev_b32_sdwa v25, v15, v22 dst_sel:DWORD dst_unused:UNUSED_PAD src0_sel:DWORD src1_sel:BYTE_0
	v_lshlrev_b32_sdwa v22, v15, v22 dst_sel:DWORD dst_unused:UNUSED_PAD src0_sel:DWORD src1_sel:BYTE_1
	v_bfe_u32 v13, v13, 16, 8
	v_lshl_or_b32 v24, v24, 3, v14
	ds_read_b64 v[8:9], v5
	ds_read_b64 v[67:68], v5 offset:17280
	ds_read_b64 v[4:5], v4
	ds_read_b64 v[2:3], v3
	global_load_dwordx2 v[69:70], v22, s[0:1] offset:2048
	v_lshl_or_b32 v13, v13, 3, v14
	global_load_dwordx2 v[71:72], v24, s[0:1]
	global_load_dwordx2 v[73:74], v25, s[0:1]
	;; [unrolled: 1-line block ×3, first 2 shown]
	s_waitcnt vmcnt(13)
	v_mul_f32_e32 v13, v55, v19
	s_waitcnt vmcnt(12)
	v_mul_f32_e32 v27, v43, v39
	v_mul_f32_e32 v26, v41, v37
	;; [unrolled: 1-line block ×3, first 2 shown]
	s_waitcnt vmcnt(10)
	v_mul_f32_e32 v37, v52, v10
	v_mul_f32_e32 v25, v56, v19
	;; [unrolled: 1-line block ×4, first 2 shown]
	v_fma_f32 v33, v56, v18, -v13
	v_fmac_f32_e32 v27, v42, v38
	v_fma_f32 v42, v51, v11, -v37
	v_mul_f32_e32 v39, v50, v6
	v_fmac_f32_e32 v28, v49, v6
	v_add_f32_e32 v6, v42, v33
	s_waitcnt lgkmcnt(1)
	v_mul_f32_e32 v32, v48, v4
	v_fma_f32 v13, -0.5, v6, v9
	v_add_u32_e32 v6, 0x78, v12
	v_mul_f32_e32 v30, v48, v5
	v_fma_f32 v35, v43, v38, -v19
	v_fmac_f32_e32 v26, v40, v36
	v_fma_f32 v36, v41, v36, -v22
	v_fma_f32 v41, v47, v5, -v32
	v_mul_lo_u32 v6, v1, v6
	v_mul_f32_e32 v24, v17, v54
	s_waitcnt vmcnt(9)
	v_mul_f32_e32 v29, v68, v21
	v_fmac_f32_e32 v30, v47, v4
	v_sub_f32_e32 v4, v41, v42
	v_sub_f32_e32 v5, v35, v33
	v_mul_f32_e32 v17, v17, v53
	v_mul_f32_e32 v31, v52, v11
	v_fmac_f32_e32 v24, v16, v53
	v_fmac_f32_e32 v29, v67, v20
	v_add_f32_e32 v78, v4, v5
	v_mul_f32_e32 v4, v67, v21
	s_waitcnt lgkmcnt(0)
	v_mul_f32_e32 v37, v46, v3
	v_fma_f32 v34, v16, v54, -v17
	v_fmac_f32_e32 v31, v51, v10
	v_fma_f32 v38, v49, v7, -v39
	v_sub_f32_e32 v7, v28, v24
	v_sub_f32_e32 v10, v29, v26
	v_fma_f32 v39, v68, v20, -v4
	v_fmac_f32_e32 v37, v45, v2
	v_add_f32_e32 v4, v24, v26
	v_mul_f32_e32 v2, v46, v2
	v_add_f32_e32 v49, v7, v10
	v_fma_f32 v44, -0.5, v4, v37
	v_fma_f32 v40, v45, v3, -v2
	v_sub_f32_e32 v3, v38, v34
	v_sub_f32_e32 v4, v39, v36
	v_bfe_u32 v10, v6, 16, 8
	v_add_f32_e32 v52, v3, v4
	s_waitcnt vmcnt(6)
	v_mul_f32_e32 v3, v60, v62
	v_mul_f32_e32 v4, v59, v62
	v_lshl_or_b32 v16, v10, 3, v14
	v_fmac_f32_e32 v25, v55, v18
	v_fma_f32 v3, v59, v61, -v3
	v_fmac_f32_e32 v4, v60, v61
	v_lshlrev_b32_sdwa v17, v15, v6 dst_sel:DWORD dst_unused:UNUSED_PAD src0_sel:DWORD src1_sel:BYTE_0
	v_lshlrev_b32_sdwa v6, v15, v6 dst_sel:DWORD dst_unused:UNUSED_PAD src0_sel:DWORD src1_sel:BYTE_1
	global_load_dwordx2 v[10:11], v16, s[0:1]
	global_load_dwordx2 v[54:55], v17, s[0:1]
	global_load_dwordx2 v[59:60], v6, s[0:1] offset:2048
	s_waitcnt vmcnt(7)
	v_mul_f32_e32 v5, v64, v66
	v_mul_f32_e32 v7, v63, v66
	v_fma_f32 v5, v63, v65, -v5
	v_fmac_f32_e32 v7, v64, v65
	v_mul_f32_e32 v18, v4, v58
	v_mul_f32_e32 v19, v3, v58
	s_waitcnt vmcnt(4)
	v_mul_f32_e32 v16, v73, v70
	v_fma_f32 v18, v57, v3, -v18
	v_fmac_f32_e32 v19, v57, v4
	s_waitcnt vmcnt(3)
	v_mul_f32_e32 v3, v7, v76
	v_mul_f32_e32 v4, v5, v76
	;; [unrolled: 1-line block ×3, first 2 shown]
	v_fmac_f32_e32 v16, v74, v69
	v_add_f32_e32 v17, v34, v36
	v_fma_f32 v21, v75, v5, -v3
	v_fmac_f32_e32 v4, v75, v7
	v_sub_f32_e32 v3, v30, v31
	v_sub_f32_e32 v7, v27, v25
	v_fma_f32 v6, v73, v69, -v6
	v_fma_f32 v53, -0.5, v17, v40
	v_add_f32_e32 v68, v3, v7
	v_mul_f32_e32 v3, v16, v72
	v_sub_f32_e32 v67, v28, v29
	v_mov_b32_e32 v17, v53
	v_fma_f32 v57, v71, v6, -v3
	v_mul_f32_e32 v6, v6, v72
	v_add_f32_e32 v3, v31, v25
	v_sub_f32_e32 v51, v38, v39
	v_mov_b32_e32 v2, v44
	v_fmac_f32_e32 v17, 0xbf737871, v67
	v_sub_f32_e32 v58, v24, v26
	v_fmac_f32_e32 v6, v71, v16
	v_fma_f32 v16, -0.5, v3, v8
	v_sub_f32_e32 v50, v34, v36
	v_fmac_f32_e32 v2, 0x3f737871, v51
	v_fmac_f32_e32 v17, 0xbf167918, v58
	v_sub_f32_e32 v70, v41, v35
	v_mov_b32_e32 v46, v16
	v_sub_f32_e32 v56, v30, v27
	v_mov_b32_e32 v32, v13
	v_fmac_f32_e32 v2, 0x3f167918, v50
	v_fmac_f32_e32 v17, 0x3e9e377a, v52
	v_sub_f32_e32 v69, v42, v33
	v_fmac_f32_e32 v46, 0x3f737871, v70
	v_sub_f32_e32 v77, v31, v25
	v_fmac_f32_e32 v32, 0xbf737871, v56
	v_fmac_f32_e32 v2, 0x3e9e377a, v49
	v_mul_f32_e32 v45, 0xbf167918, v17
	v_fmac_f32_e32 v46, 0x3f167918, v69
	v_fmac_f32_e32 v32, 0xbf167918, v77
	v_mul_f32_e32 v43, 0xbf4f1bbd, v17
	v_fmac_f32_e32 v45, 0xbf4f1bbd, v2
	v_fmac_f32_e32 v46, 0x3e9e377a, v68
	v_fmac_f32_e32 v32, 0x3e9e377a, v78
	v_fmac_f32_e32 v43, 0x3f167918, v2
	v_sub_f32_e32 v7, v46, v45
	v_sub_f32_e32 v5, v32, v43
	v_mul_f32_e32 v2, v7, v19
	v_fma_f32 v3, v5, v18, -v2
	v_mul_f32_e32 v2, v5, v19
	v_fmac_f32_e32 v2, v7, v18
	v_sub_f32_e32 v5, v42, v41
	v_sub_f32_e32 v7, v33, v35
	v_add_f32_e32 v7, v5, v7
	v_sub_f32_e32 v5, v24, v28
	v_sub_f32_e32 v17, v26, v29
	v_add_f32_e32 v22, v5, v17
	;; [unrolled: 3-line block ×4, first 2 shown]
	v_add_f32_e32 v17, v38, v39
	v_add_f32_e32 v5, v28, v29
	v_fma_f32 v64, -0.5, v17, v40
	v_fma_f32 v63, -0.5, v5, v37
	v_mov_b32_e32 v17, v64
	v_mov_b32_e32 v5, v63
	v_fmac_f32_e32 v17, 0x3f737871, v58
	v_fmac_f32_e32 v5, 0xbf737871, v50
	;; [unrolled: 1-line block ×6, first 2 shown]
	v_mul_f32_e32 v47, 0xbe9e377a, v17
	v_mul_f32_e32 v19, 0xbf737871, v17
	v_fmac_f32_e32 v47, 0x3f737871, v5
	v_fmac_f32_e32 v19, 0xbe9e377a, v5
	v_add_f32_e32 v5, v41, v35
	v_fma_f32 v18, -0.5, v5, v9
	v_add_f32_e32 v5, v30, v27
	v_fma_f32 v17, -0.5, v5, v8
	v_mov_b32_e32 v48, v18
	v_mov_b32_e32 v20, v17
	v_fmac_f32_e32 v48, 0x3f737871, v77
	v_fmac_f32_e32 v20, 0xbf737871, v69
	;; [unrolled: 1-line block ×7, first 2 shown]
	v_sub_f32_e32 v65, v48, v47
	v_sub_f32_e32 v66, v20, v19
	v_fmac_f32_e32 v63, 0x3f737871, v50
	v_fmac_f32_e32 v64, 0x3f167918, v67
	v_mul_f32_e32 v5, v66, v4
	v_mul_f32_e32 v4, v65, v4
	v_fmac_f32_e32 v18, 0xbf737871, v77
	v_fmac_f32_e32 v63, 0xbf167918, v51
	;; [unrolled: 1-line block ×4, first 2 shown]
	v_fma_f32 v5, v65, v21, -v5
	v_fmac_f32_e32 v4, v66, v21
	v_fmac_f32_e32 v18, 0x3f167918, v56
	;; [unrolled: 1-line block ×4, first 2 shown]
	v_mul_f32_e32 v22, 0x3e9e377a, v64
	v_mul_f32_e32 v21, 0xbf737871, v64
	v_fmac_f32_e32 v18, 0x3e9e377a, v7
	v_fmac_f32_e32 v17, 0x3e9e377a, v62
	;; [unrolled: 1-line block ×4, first 2 shown]
	v_sub_f32_e32 v61, v18, v22
	v_sub_f32_e32 v62, v17, v21
	v_mul_f32_e32 v7, v62, v6
	v_mul_f32_e32 v6, v61, v6
	v_fma_f32 v7, v61, v57, -v7
	v_fmac_f32_e32 v6, v62, v57
	v_add_u32_e32 v57, 0x64, v12
	v_mul_lo_u32 v57, v1, v57
	v_fmac_f32_e32 v13, 0x3f737871, v56
	v_fmac_f32_e32 v44, 0xbf737871, v51
	v_fmac_f32_e32 v44, 0xbf167918, v50
	v_lshlrev_b32_sdwa v63, v15, v57 dst_sel:DWORD dst_unused:UNUSED_PAD src0_sel:DWORD src1_sel:BYTE_0
	v_lshlrev_b32_sdwa v64, v15, v57 dst_sel:DWORD dst_unused:UNUSED_PAD src0_sel:DWORD src1_sel:BYTE_1
	v_bfe_u32 v56, v57, 16, 8
	v_add_u32_e32 v57, 0x50, v12
	v_mul_lo_u32 v71, v1, v57
	v_lshl_or_b32 v72, v56, 3, v14
	global_load_dwordx2 v[56:57], v63, s[0:1]
	global_load_dwordx2 v[61:62], v64, s[0:1] offset:2048
	v_fmac_f32_e32 v44, 0x3e9e377a, v49
	v_bfe_u32 v63, v71, 16, 8
	v_fmac_f32_e32 v53, 0x3f737871, v67
	s_waitcnt vmcnt(2)
	v_mul_f32_e32 v49, v55, v60
	v_mul_f32_e32 v60, v54, v60
	v_lshl_or_b32 v73, v63, 3, v14
	v_fmac_f32_e32 v53, 0x3f167918, v58
	v_fmac_f32_e32 v60, v55, v59
	v_lshlrev_b32_sdwa v50, v15, v71 dst_sel:DWORD dst_unused:UNUSED_PAD src0_sel:DWORD src1_sel:BYTE_0
	v_fmac_f32_e32 v13, 0x3f167918, v77
	global_load_dwordx2 v[63:64], v73, s[0:1]
	global_load_dwordx2 v[65:66], v72, s[0:1]
	v_fmac_f32_e32 v53, 0x3e9e377a, v52
	v_fma_f32 v72, v54, v59, -v49
	v_lshlrev_b32_sdwa v58, v15, v71 dst_sel:DWORD dst_unused:UNUSED_PAD src0_sel:DWORD src1_sel:BYTE_1
	global_load_dwordx2 v[51:52], v50, s[0:1]
	global_load_dwordx2 v[54:55], v58, s[0:1] offset:2048
	v_mul_f32_e32 v50, v60, v11
	v_fmac_f32_e32 v13, 0x3e9e377a, v78
	v_fma_f32 v78, v10, v72, -v50
	v_add_u32_e32 v50, 60, v12
	v_fmac_f32_e32 v16, 0xbf737871, v70
	v_mul_lo_u32 v70, v1, v50
	v_mul_f32_e32 v49, 0x3f4f1bbd, v53
	v_mul_f32_e32 v50, 0xbf167918, v53
	v_fmac_f32_e32 v16, 0xbf167918, v69
	v_bfe_u32 v53, v70, 16, 8
	v_lshl_or_b32 v53, v53, 3, v14
	v_fmac_f32_e32 v16, 0x3e9e377a, v68
	v_lshlrev_b32_sdwa v69, v15, v70 dst_sel:DWORD dst_unused:UNUSED_PAD src0_sel:DWORD src1_sel:BYTE_0
	global_load_dwordx2 v[58:59], v53, s[0:1]
	global_load_dwordx2 v[67:68], v69, s[0:1]
	v_lshlrev_b32_sdwa v53, v15, v70 dst_sel:DWORD dst_unused:UNUSED_PAD src0_sel:DWORD src1_sel:BYTE_1
	global_load_dwordx2 v[69:70], v53, s[0:1] offset:2048
	v_add_u32_e32 v53, 40, v12
	v_mul_lo_u32 v53, v1, v53
	v_mul_f32_e32 v79, v72, v11
	v_fmac_f32_e32 v79, v10, v60
	v_fmac_f32_e32 v50, 0x3f4f1bbd, v44
	v_bfe_u32 v11, v53, 16, 8
	v_lshl_or_b32 v11, v11, 3, v14
	v_lshlrev_b32_sdwa v60, v15, v53 dst_sel:DWORD dst_unused:UNUSED_PAD src0_sel:DWORD src1_sel:BYTE_0
	v_lshlrev_b32_sdwa v53, v15, v53 dst_sel:DWORD dst_unused:UNUSED_PAD src0_sel:DWORD src1_sel:BYTE_1
	global_load_dwordx2 v[71:72], v11, s[0:1]
	global_load_dwordx2 v[73:74], v60, s[0:1]
	global_load_dwordx2 v[75:76], v53, s[0:1] offset:2048
	v_add_u32_e32 v53, 20, v12
	v_mul_lo_u32 v53, v1, v53
	v_fmac_f32_e32 v49, 0x3f167918, v44
	v_sub_f32_e32 v44, v16, v50
	v_mul_lo_u32 v1, v1, v12
	v_sub_f32_e32 v77, v13, v49
	v_mul_f32_e32 v10, v44, v79
	v_fma_f32 v11, v77, v78, -v10
	v_mul_f32_e32 v10, v77, v79
	v_fmac_f32_e32 v10, v44, v78
	v_add_f32_e32 v9, v9, v41
	v_lshlrev_b32_sdwa v44, v15, v53 dst_sel:DWORD dst_unused:UNUSED_PAD src0_sel:DWORD src1_sel:BYTE_0
	v_bfe_u32 v41, v53, 16, 8
	v_add_f32_e32 v9, v9, v42
	v_lshlrev_b32_sdwa v60, v15, v53 dst_sel:DWORD dst_unused:UNUSED_PAD src0_sel:DWORD src1_sel:BYTE_1
	v_lshl_or_b32 v53, v41, 3, v14
	global_load_dwordx2 v[41:42], v44, s[0:1]
	global_load_dwordx2 v[77:78], v60, s[0:1] offset:2048
	v_bfe_u32 v44, v1, 16, 8
	v_lshl_or_b32 v14, v44, 3, v14
	v_add_f32_e32 v9, v9, v33
	global_load_dwordx2 v[79:80], v14, s[0:1]
	global_load_dwordx2 v[81:82], v53, s[0:1]
	v_add_f32_e32 v35, v9, v35
	v_add_f32_e32 v9, v40, v38
	;; [unrolled: 1-line block ×5, first 2 shown]
	v_lshlrev_b32_sdwa v9, v15, v1 dst_sel:DWORD dst_unused:UNUSED_PAD src0_sel:DWORD src1_sel:BYTE_0
	v_lshlrev_b32_sdwa v1, v15, v1 dst_sel:DWORD dst_unused:UNUSED_PAD src0_sel:DWORD src1_sel:BYTE_1
	global_load_dwordx2 v[14:15], v9, s[0:1]
	global_load_dwordx2 v[33:34], v1, s[0:1] offset:2048
	v_add_f32_e32 v8, v8, v30
	v_add_f32_e32 v8, v8, v31
	;; [unrolled: 1-line block ×8, first 2 shown]
	v_sub_f32_e32 v24, v27, v26
	s_waitcnt vmcnt(16)
	v_mul_f32_e32 v9, v57, v62
	v_fma_f32 v9, v56, v61, -v9
	v_mul_f32_e32 v38, v56, v62
	v_fmac_f32_e32 v38, v57, v61
	v_sub_f32_e32 v1, v35, v36
	v_add_f32_e32 v28, v46, v45
	v_add_f32_e32 v31, v20, v19
	;; [unrolled: 1-line block ×4, first 2 shown]
	s_waitcnt vmcnt(14)
	v_mul_f32_e32 v8, v9, v66
	v_mul_f32_e32 v39, v38, v66
	v_fmac_f32_e32 v8, v65, v38
	v_fma_f32 v39, v65, v9, -v39
	v_mul_f32_e32 v9, v24, v8
	s_waitcnt vmcnt(12)
	v_mul_f32_e32 v25, v51, v55
	v_fma_f32 v9, v1, v39, -v9
	v_mul_f32_e32 v8, v1, v8
	v_mul_f32_e32 v1, v52, v55
	v_fmac_f32_e32 v25, v52, v54
	v_fma_f32 v1, v51, v54, -v1
	v_mul_f32_e32 v29, v25, v64
	v_fma_f32 v29, v63, v1, -v29
	v_mul_f32_e32 v1, v1, v64
	v_fmac_f32_e32 v1, v63, v25
	v_fmac_f32_e32 v8, v24, v39
	v_add_f32_e32 v24, v32, v43
	v_mul_f32_e32 v25, v28, v1
	v_fma_f32 v25, v24, v29, -v25
	v_mul_f32_e32 v24, v24, v1
	v_fmac_f32_e32 v24, v28, v29
	s_waitcnt vmcnt(9)
	v_mul_f32_e32 v28, v68, v70
	v_fma_f32 v28, v67, v69, -v28
	v_mul_f32_e32 v29, v67, v70
	v_fmac_f32_e32 v29, v68, v69
	v_mul_f32_e32 v19, v28, v59
	v_mul_f32_e32 v30, v29, v59
	v_fmac_f32_e32 v19, v58, v29
	v_add_f32_e32 v1, v48, v47
	v_fma_f32 v30, v58, v28, -v30
	v_mul_f32_e32 v20, v31, v19
	v_fma_f32 v20, v1, v30, -v20
	v_mul_f32_e32 v19, v1, v19
	v_add_f32_e32 v1, v18, v22
	s_waitcnt vmcnt(6)
	v_mul_f32_e32 v18, v74, v76
	v_fma_f32 v18, v73, v75, -v18
	v_mul_f32_e32 v22, v73, v76
	v_fmac_f32_e32 v22, v74, v75
	v_mul_f32_e32 v17, v18, v72
	v_mul_f32_e32 v28, v22, v72
	v_fmac_f32_e32 v17, v71, v22
	v_fma_f32 v28, v71, v18, -v28
	v_mul_f32_e32 v18, v21, v17
	v_mul_f32_e32 v17, v1, v17
	v_fmac_f32_e32 v17, v21, v28
	v_fma_f32 v18, v1, v28, -v18
	v_add_f32_e32 v1, v13, v49
	s_waitcnt vmcnt(4)
	v_mul_f32_e32 v21, v41, v78
	v_mul_f32_e32 v13, v42, v78
	v_fmac_f32_e32 v21, v42, v77
	v_fma_f32 v13, v41, v77, -v13
	s_waitcnt vmcnt(2)
	v_mul_f32_e32 v22, v21, v82
	v_fma_f32 v28, v81, v13, -v22
	v_mul_f32_e32 v13, v13, v82
	v_fmac_f32_e32 v13, v81, v21
	v_mul_f32_e32 v21, v16, v13
	v_fma_f32 v22, v1, v28, -v21
	v_mul_f32_e32 v21, v1, v13
	v_fmac_f32_e32 v19, v31, v30
	s_waitcnt vmcnt(0)
	v_mul_f32_e32 v1, v15, v34
	v_mul_f32_e32 v13, v14, v34
	v_fma_f32 v1, v14, v33, -v1
	v_fmac_f32_e32 v13, v15, v33
	v_mul_f32_e32 v14, v13, v80
	v_mul_f32_e32 v32, v1, v80
	v_fma_f32 v30, v79, v1, -v14
	v_fmac_f32_e32 v32, v79, v13
	v_mad_u64_u32 v[13:14], s[0:1], s10, v23, 0
	s_movk_i32 s0, 0x112
	v_mul_u32_u24_sdwa v0, v0, s0 dst_sel:DWORD dst_unused:UNUSED_PAD src0_sel:WORD_0 src1_sel:DWORD
	s_movk_i32 s0, 0xc8
	v_mul_lo_u16_sdwa v0, v0, s0 dst_sel:DWORD dst_unused:UNUSED_PAD src0_sel:WORD_1 src1_sel:DWORD
	v_add_u32_e32 v33, v12, v0
	v_fmac_f32_e32 v21, v16, v28
	v_mad_u64_u32 v[15:16], s[0:1], s8, v33, 0
	v_add_f32_e32 v31, v27, v26
	v_add_f32_e32 v29, v35, v36
	v_mul_f32_e32 v1, v31, v32
	v_fma_f32 v1, v29, v30, -v1
	v_mov_b32_e32 v0, v14
	v_mad_u64_u32 v[26:27], s[0:1], s11, v23, v[0:1]
	v_mov_b32_e32 v0, v16
	v_mad_u64_u32 v[27:28], s[0:1], s9, v33, v[0:1]
	s_lshl_b64 s[0:1], s[2:3], 3
	s_add_u32 s2, s12, s0
	v_mov_b32_e32 v14, v26
	s_addc_u32 s0, s13, s1
	v_add_u32_e32 v23, 20, v33
	v_mov_b32_e32 v16, v27
	v_lshlrev_b64 v[12:13], 3, v[13:14]
	v_mov_b32_e32 v14, s0
	v_mad_u64_u32 v[26:27], s[0:1], s8, v23, 0
	v_add_co_u32_e32 v28, vcc, s2, v12
	v_mul_f32_e32 v0, v29, v32
	v_addc_co_u32_e32 v29, vcc, v14, v13, vcc
	v_mov_b32_e32 v14, v27
	v_lshlrev_b64 v[12:13], 3, v[15:16]
	v_mad_u64_u32 v[14:15], s[0:1], s9, v23, v[14:15]
	v_add_co_u32_e32 v12, vcc, v28, v12
	v_fmac_f32_e32 v0, v31, v30
	v_addc_co_u32_e32 v13, vcc, v29, v13, vcc
	v_mov_b32_e32 v27, v14
	v_add_u32_e32 v14, 40, v33
	global_store_dwordx2 v[12:13], v[0:1], off
	v_mad_u64_u32 v[12:13], s[0:1], s8, v14, 0
	v_add_u32_e32 v16, 60, v33
	v_lshlrev_b64 v[0:1], 3, v[26:27]
	v_mad_u64_u32 v[13:14], s[0:1], s9, v14, v[13:14]
	v_mad_u64_u32 v[14:15], s[0:1], s8, v16, 0
	v_add_co_u32_e32 v0, vcc, v28, v0
	v_addc_co_u32_e32 v1, vcc, v29, v1, vcc
	global_store_dwordx2 v[0:1], v[21:22], off
	v_lshlrev_b64 v[0:1], 3, v[12:13]
	v_mov_b32_e32 v12, v15
	v_mad_u64_u32 v[12:13], s[0:1], s9, v16, v[12:13]
	v_add_co_u32_e32 v0, vcc, v28, v0
	v_addc_co_u32_e32 v1, vcc, v29, v1, vcc
	v_mov_b32_e32 v15, v12
	global_store_dwordx2 v[0:1], v[17:18], off
	v_lshlrev_b64 v[0:1], 3, v[14:15]
	v_add_u32_e32 v14, 0x50, v33
	v_mad_u64_u32 v[12:13], s[0:1], s8, v14, 0
	v_add_u32_e32 v16, 0x64, v33
	v_add_co_u32_e32 v0, vcc, v28, v0
	v_mad_u64_u32 v[13:14], s[0:1], s9, v14, v[13:14]
	v_mad_u64_u32 v[14:15], s[0:1], s8, v16, 0
	v_addc_co_u32_e32 v1, vcc, v29, v1, vcc
	global_store_dwordx2 v[0:1], v[19:20], off
	v_lshlrev_b64 v[0:1], 3, v[12:13]
	v_mov_b32_e32 v12, v15
	v_mad_u64_u32 v[12:13], s[0:1], s9, v16, v[12:13]
	v_add_co_u32_e32 v0, vcc, v28, v0
	v_addc_co_u32_e32 v1, vcc, v29, v1, vcc
	v_mov_b32_e32 v15, v12
	global_store_dwordx2 v[0:1], v[24:25], off
	v_lshlrev_b64 v[0:1], 3, v[14:15]
	v_add_u32_e32 v14, 0x78, v33
	v_mad_u64_u32 v[12:13], s[0:1], s8, v14, 0
	v_add_u32_e32 v16, 0x8c, v33
	v_add_co_u32_e32 v0, vcc, v28, v0
	v_mad_u64_u32 v[13:14], s[0:1], s9, v14, v[13:14]
	v_mad_u64_u32 v[14:15], s[0:1], s8, v16, 0
	v_addc_co_u32_e32 v1, vcc, v29, v1, vcc
	global_store_dwordx2 v[0:1], v[8:9], off
	v_lshlrev_b64 v[0:1], 3, v[12:13]
	v_mov_b32_e32 v8, v15
	v_mad_u64_u32 v[8:9], s[0:1], s9, v16, v[8:9]
	v_add_co_u32_e32 v0, vcc, v28, v0
	v_addc_co_u32_e32 v1, vcc, v29, v1, vcc
	global_store_dwordx2 v[0:1], v[10:11], off
	v_add_u32_e32 v10, 0xa0, v33
	v_mov_b32_e32 v15, v8
	v_mad_u64_u32 v[8:9], s[0:1], s8, v10, 0
	v_add_u32_e32 v12, 0xb4, v33
	v_lshlrev_b64 v[0:1], 3, v[14:15]
	v_mad_u64_u32 v[9:10], s[0:1], s9, v10, v[9:10]
	v_mad_u64_u32 v[10:11], s[0:1], s8, v12, 0
	v_add_co_u32_e32 v0, vcc, v28, v0
	v_addc_co_u32_e32 v1, vcc, v29, v1, vcc
	global_store_dwordx2 v[0:1], v[6:7], off
	v_mov_b32_e32 v6, v11
	v_mad_u64_u32 v[6:7], s[0:1], s9, v12, v[6:7]
	v_lshlrev_b64 v[0:1], 3, v[8:9]
	v_add_co_u32_e32 v0, vcc, v28, v0
	v_addc_co_u32_e32 v1, vcc, v29, v1, vcc
	v_mov_b32_e32 v11, v6
	global_store_dwordx2 v[0:1], v[4:5], off
	v_lshlrev_b64 v[0:1], 3, v[10:11]
	v_add_co_u32_e32 v0, vcc, v28, v0
	v_addc_co_u32_e32 v1, vcc, v29, v1, vcc
	global_store_dwordx2 v[0:1], v[2:3], off
.LBB0_16:
	s_endpgm
	.section	.rodata,"a",@progbits
	.p2align	6, 0x0
	.amdhsa_kernel fft_rtc_back_len200_factors_2_2_5_10_wgs_240_tpt_20_dim3_sp_ip_CI_sbcc_twdbase8_3step_dirReg
		.amdhsa_group_segment_fixed_size 0
		.amdhsa_private_segment_fixed_size 0
		.amdhsa_kernarg_size 88
		.amdhsa_user_sgpr_count 6
		.amdhsa_user_sgpr_private_segment_buffer 1
		.amdhsa_user_sgpr_dispatch_ptr 0
		.amdhsa_user_sgpr_queue_ptr 0
		.amdhsa_user_sgpr_kernarg_segment_ptr 1
		.amdhsa_user_sgpr_dispatch_id 0
		.amdhsa_user_sgpr_flat_scratch_init 0
		.amdhsa_user_sgpr_private_segment_size 0
		.amdhsa_uses_dynamic_stack 0
		.amdhsa_system_sgpr_private_segment_wavefront_offset 0
		.amdhsa_system_sgpr_workgroup_id_x 1
		.amdhsa_system_sgpr_workgroup_id_y 0
		.amdhsa_system_sgpr_workgroup_id_z 0
		.amdhsa_system_sgpr_workgroup_info 0
		.amdhsa_system_vgpr_workitem_id 0
		.amdhsa_next_free_vgpr 83
		.amdhsa_next_free_sgpr 26
		.amdhsa_reserve_vcc 1
		.amdhsa_reserve_flat_scratch 0
		.amdhsa_float_round_mode_32 0
		.amdhsa_float_round_mode_16_64 0
		.amdhsa_float_denorm_mode_32 3
		.amdhsa_float_denorm_mode_16_64 3
		.amdhsa_dx10_clamp 1
		.amdhsa_ieee_mode 1
		.amdhsa_fp16_overflow 0
		.amdhsa_exception_fp_ieee_invalid_op 0
		.amdhsa_exception_fp_denorm_src 0
		.amdhsa_exception_fp_ieee_div_zero 0
		.amdhsa_exception_fp_ieee_overflow 0
		.amdhsa_exception_fp_ieee_underflow 0
		.amdhsa_exception_fp_ieee_inexact 0
		.amdhsa_exception_int_div_zero 0
	.end_amdhsa_kernel
	.text
.Lfunc_end0:
	.size	fft_rtc_back_len200_factors_2_2_5_10_wgs_240_tpt_20_dim3_sp_ip_CI_sbcc_twdbase8_3step_dirReg, .Lfunc_end0-fft_rtc_back_len200_factors_2_2_5_10_wgs_240_tpt_20_dim3_sp_ip_CI_sbcc_twdbase8_3step_dirReg
                                        ; -- End function
	.section	.AMDGPU.csdata,"",@progbits
; Kernel info:
; codeLenInByte = 7288
; NumSgprs: 30
; NumVgprs: 83
; ScratchSize: 0
; MemoryBound: 0
; FloatMode: 240
; IeeeMode: 1
; LDSByteSize: 0 bytes/workgroup (compile time only)
; SGPRBlocks: 3
; VGPRBlocks: 20
; NumSGPRsForWavesPerEU: 30
; NumVGPRsForWavesPerEU: 83
; Occupancy: 3
; WaveLimiterHint : 1
; COMPUTE_PGM_RSRC2:SCRATCH_EN: 0
; COMPUTE_PGM_RSRC2:USER_SGPR: 6
; COMPUTE_PGM_RSRC2:TRAP_HANDLER: 0
; COMPUTE_PGM_RSRC2:TGID_X_EN: 1
; COMPUTE_PGM_RSRC2:TGID_Y_EN: 0
; COMPUTE_PGM_RSRC2:TGID_Z_EN: 0
; COMPUTE_PGM_RSRC2:TIDIG_COMP_CNT: 0
	.type	__hip_cuid_dd3cfeeea942e43f,@object ; @__hip_cuid_dd3cfeeea942e43f
	.section	.bss,"aw",@nobits
	.globl	__hip_cuid_dd3cfeeea942e43f
__hip_cuid_dd3cfeeea942e43f:
	.byte	0                               ; 0x0
	.size	__hip_cuid_dd3cfeeea942e43f, 1

	.ident	"AMD clang version 19.0.0git (https://github.com/RadeonOpenCompute/llvm-project roc-6.4.0 25133 c7fe45cf4b819c5991fe208aaa96edf142730f1d)"
	.section	".note.GNU-stack","",@progbits
	.addrsig
	.addrsig_sym __hip_cuid_dd3cfeeea942e43f
	.amdgpu_metadata
---
amdhsa.kernels:
  - .args:
      - .actual_access:  read_only
        .address_space:  global
        .offset:         0
        .size:           8
        .value_kind:     global_buffer
      - .address_space:  global
        .offset:         8
        .size:           8
        .value_kind:     global_buffer
      - .actual_access:  read_only
        .address_space:  global
        .offset:         16
        .size:           8
        .value_kind:     global_buffer
      - .actual_access:  read_only
        .address_space:  global
        .offset:         24
        .size:           8
        .value_kind:     global_buffer
      - .offset:         32
        .size:           8
        .value_kind:     by_value
      - .actual_access:  read_only
        .address_space:  global
        .offset:         40
        .size:           8
        .value_kind:     global_buffer
      - .actual_access:  read_only
        .address_space:  global
        .offset:         48
        .size:           8
        .value_kind:     global_buffer
      - .offset:         56
        .size:           4
        .value_kind:     by_value
      - .actual_access:  read_only
        .address_space:  global
        .offset:         64
        .size:           8
        .value_kind:     global_buffer
      - .actual_access:  read_only
        .address_space:  global
        .offset:         72
        .size:           8
        .value_kind:     global_buffer
      - .address_space:  global
        .offset:         80
        .size:           8
        .value_kind:     global_buffer
    .group_segment_fixed_size: 0
    .kernarg_segment_align: 8
    .kernarg_segment_size: 88
    .language:       OpenCL C
    .language_version:
      - 2
      - 0
    .max_flat_workgroup_size: 240
    .name:           fft_rtc_back_len200_factors_2_2_5_10_wgs_240_tpt_20_dim3_sp_ip_CI_sbcc_twdbase8_3step_dirReg
    .private_segment_fixed_size: 0
    .sgpr_count:     30
    .sgpr_spill_count: 0
    .symbol:         fft_rtc_back_len200_factors_2_2_5_10_wgs_240_tpt_20_dim3_sp_ip_CI_sbcc_twdbase8_3step_dirReg.kd
    .uniform_work_group_size: 1
    .uses_dynamic_stack: false
    .vgpr_count:     83
    .vgpr_spill_count: 0
    .wavefront_size: 64
amdhsa.target:   amdgcn-amd-amdhsa--gfx906
amdhsa.version:
  - 1
  - 2
...

	.end_amdgpu_metadata
